;; amdgpu-corpus repo=llvm/llvm-project kind=harvested arch=n/a opt=n/a
// NOTE: Assertions have been autogenerated by utils/update_mc_test_checks.py UTC_ARGS: --unique --sort --version 6
// RUN: not llvm-mc -triple=r600 %s -filetype=null 2>&1 | FileCheck --check-prefix=R600 %s

.amd_amdgpu_hsa_metadata
// R600: :[[@LINE-1]]:25: error: .amd_amdgpu_hsa_metadata directive is not available on non-amdhsa OSes

.amd_amdgpu_isa "r600"
// R600: :[[@LINE-1]]:17: error: .amd_amdgpu_isa directive is not available on non-amdgcn architectures

.amd_amdgpu_pal_metadata
// R600: :[[@LINE-1]]:25: error: .amd_amdgpu_pal_metadata directive is not available on non-amdpal OSes
